;; amdgpu-corpus repo=ROCm/rocFFT kind=compiled arch=gfx1201 opt=O3
	.text
	.amdgcn_target "amdgcn-amd-amdhsa--gfx1201"
	.amdhsa_code_object_version 6
	.protected	fft_rtc_fwd_len1232_factors_2_2_2_2_11_7_wgs_176_tpt_176_halfLds_dp_ip_CI_unitstride_sbrr_C2R_dirReg ; -- Begin function fft_rtc_fwd_len1232_factors_2_2_2_2_11_7_wgs_176_tpt_176_halfLds_dp_ip_CI_unitstride_sbrr_C2R_dirReg
	.globl	fft_rtc_fwd_len1232_factors_2_2_2_2_11_7_wgs_176_tpt_176_halfLds_dp_ip_CI_unitstride_sbrr_C2R_dirReg
	.p2align	8
	.type	fft_rtc_fwd_len1232_factors_2_2_2_2_11_7_wgs_176_tpt_176_halfLds_dp_ip_CI_unitstride_sbrr_C2R_dirReg,@function
fft_rtc_fwd_len1232_factors_2_2_2_2_11_7_wgs_176_tpt_176_halfLds_dp_ip_CI_unitstride_sbrr_C2R_dirReg: ; @fft_rtc_fwd_len1232_factors_2_2_2_2_11_7_wgs_176_tpt_176_halfLds_dp_ip_CI_unitstride_sbrr_C2R_dirReg
; %bb.0:
	s_clause 0x2
	s_load_b128 s[4:7], s[0:1], 0x0
	s_load_b64 s[8:9], s[0:1], 0x50
	s_load_b64 s[10:11], s[0:1], 0x18
	v_mul_u32_u24_e32 v1, 0x175, v0
	v_mov_b32_e32 v3, 0
	s_delay_alu instid0(VALU_DEP_2) | instskip(NEXT) | instid1(VALU_DEP_1)
	v_lshrrev_b32_e32 v1, 16, v1
	v_add_nc_u32_e32 v5, ttmp9, v1
	v_mov_b32_e32 v1, 0
	v_mov_b32_e32 v2, 0
	;; [unrolled: 1-line block ×3, first 2 shown]
	s_wait_kmcnt 0x0
	v_cmp_lt_u64_e64 s2, s[6:7], 2
	s_delay_alu instid0(VALU_DEP_1)
	s_and_b32 vcc_lo, exec_lo, s2
	s_cbranch_vccnz .LBB0_8
; %bb.1:
	s_load_b64 s[2:3], s[0:1], 0x10
	v_mov_b32_e32 v1, 0
	v_mov_b32_e32 v2, 0
	s_add_nc_u64 s[12:13], s[10:11], 8
	s_mov_b64 s[14:15], 1
	s_wait_kmcnt 0x0
	s_add_nc_u64 s[16:17], s[2:3], 8
	s_mov_b32 s3, 0
.LBB0_2:                                ; =>This Inner Loop Header: Depth=1
	s_load_b64 s[18:19], s[16:17], 0x0
                                        ; implicit-def: $vgpr7_vgpr8
	s_mov_b32 s2, exec_lo
	s_wait_kmcnt 0x0
	v_or_b32_e32 v4, s19, v6
	s_delay_alu instid0(VALU_DEP_1)
	v_cmpx_ne_u64_e32 0, v[3:4]
	s_wait_alu 0xfffe
	s_xor_b32 s20, exec_lo, s2
	s_cbranch_execz .LBB0_4
; %bb.3:                                ;   in Loop: Header=BB0_2 Depth=1
	s_cvt_f32_u32 s2, s18
	s_cvt_f32_u32 s21, s19
	s_sub_nc_u64 s[24:25], 0, s[18:19]
	s_wait_alu 0xfffe
	s_delay_alu instid0(SALU_CYCLE_1) | instskip(SKIP_1) | instid1(SALU_CYCLE_2)
	s_fmamk_f32 s2, s21, 0x4f800000, s2
	s_wait_alu 0xfffe
	v_s_rcp_f32 s2, s2
	s_delay_alu instid0(TRANS32_DEP_1) | instskip(SKIP_1) | instid1(SALU_CYCLE_2)
	s_mul_f32 s2, s2, 0x5f7ffffc
	s_wait_alu 0xfffe
	s_mul_f32 s21, s2, 0x2f800000
	s_wait_alu 0xfffe
	s_delay_alu instid0(SALU_CYCLE_2) | instskip(SKIP_1) | instid1(SALU_CYCLE_2)
	s_trunc_f32 s21, s21
	s_wait_alu 0xfffe
	s_fmamk_f32 s2, s21, 0xcf800000, s2
	s_cvt_u32_f32 s23, s21
	s_wait_alu 0xfffe
	s_delay_alu instid0(SALU_CYCLE_1) | instskip(SKIP_1) | instid1(SALU_CYCLE_2)
	s_cvt_u32_f32 s22, s2
	s_wait_alu 0xfffe
	s_mul_u64 s[26:27], s[24:25], s[22:23]
	s_wait_alu 0xfffe
	s_mul_hi_u32 s29, s22, s27
	s_mul_i32 s28, s22, s27
	s_mul_hi_u32 s2, s22, s26
	s_mul_i32 s30, s23, s26
	s_wait_alu 0xfffe
	s_add_nc_u64 s[28:29], s[2:3], s[28:29]
	s_mul_hi_u32 s21, s23, s26
	s_mul_hi_u32 s31, s23, s27
	s_add_co_u32 s2, s28, s30
	s_wait_alu 0xfffe
	s_add_co_ci_u32 s2, s29, s21
	s_mul_i32 s26, s23, s27
	s_add_co_ci_u32 s27, s31, 0
	s_wait_alu 0xfffe
	s_add_nc_u64 s[26:27], s[2:3], s[26:27]
	s_wait_alu 0xfffe
	v_add_co_u32 v4, s2, s22, s26
	s_delay_alu instid0(VALU_DEP_1) | instskip(SKIP_1) | instid1(VALU_DEP_1)
	s_cmp_lg_u32 s2, 0
	s_add_co_ci_u32 s23, s23, s27
	v_readfirstlane_b32 s22, v4
	s_wait_alu 0xfffe
	s_delay_alu instid0(VALU_DEP_1)
	s_mul_u64 s[24:25], s[24:25], s[22:23]
	s_wait_alu 0xfffe
	s_mul_hi_u32 s27, s22, s25
	s_mul_i32 s26, s22, s25
	s_mul_hi_u32 s2, s22, s24
	s_mul_i32 s28, s23, s24
	s_wait_alu 0xfffe
	s_add_nc_u64 s[26:27], s[2:3], s[26:27]
	s_mul_hi_u32 s21, s23, s24
	s_mul_hi_u32 s22, s23, s25
	s_wait_alu 0xfffe
	s_add_co_u32 s2, s26, s28
	s_add_co_ci_u32 s2, s27, s21
	s_mul_i32 s24, s23, s25
	s_add_co_ci_u32 s25, s22, 0
	s_wait_alu 0xfffe
	s_add_nc_u64 s[24:25], s[2:3], s[24:25]
	s_wait_alu 0xfffe
	v_add_co_u32 v4, s2, v4, s24
	s_delay_alu instid0(VALU_DEP_1) | instskip(SKIP_1) | instid1(VALU_DEP_1)
	s_cmp_lg_u32 s2, 0
	s_add_co_ci_u32 s2, s23, s25
	v_mul_hi_u32 v13, v5, v4
	s_wait_alu 0xfffe
	v_mad_co_u64_u32 v[7:8], null, v5, s2, 0
	v_mad_co_u64_u32 v[9:10], null, v6, v4, 0
	;; [unrolled: 1-line block ×3, first 2 shown]
	s_delay_alu instid0(VALU_DEP_3) | instskip(SKIP_1) | instid1(VALU_DEP_4)
	v_add_co_u32 v4, vcc_lo, v13, v7
	s_wait_alu 0xfffd
	v_add_co_ci_u32_e32 v7, vcc_lo, 0, v8, vcc_lo
	s_delay_alu instid0(VALU_DEP_2) | instskip(SKIP_1) | instid1(VALU_DEP_2)
	v_add_co_u32 v4, vcc_lo, v4, v9
	s_wait_alu 0xfffd
	v_add_co_ci_u32_e32 v4, vcc_lo, v7, v10, vcc_lo
	s_wait_alu 0xfffd
	v_add_co_ci_u32_e32 v7, vcc_lo, 0, v12, vcc_lo
	s_delay_alu instid0(VALU_DEP_2) | instskip(SKIP_1) | instid1(VALU_DEP_2)
	v_add_co_u32 v4, vcc_lo, v4, v11
	s_wait_alu 0xfffd
	v_add_co_ci_u32_e32 v9, vcc_lo, 0, v7, vcc_lo
	s_delay_alu instid0(VALU_DEP_2) | instskip(SKIP_1) | instid1(VALU_DEP_3)
	v_mul_lo_u32 v10, s19, v4
	v_mad_co_u64_u32 v[7:8], null, s18, v4, 0
	v_mul_lo_u32 v11, s18, v9
	s_delay_alu instid0(VALU_DEP_2) | instskip(NEXT) | instid1(VALU_DEP_2)
	v_sub_co_u32 v7, vcc_lo, v5, v7
	v_add3_u32 v8, v8, v11, v10
	s_delay_alu instid0(VALU_DEP_1) | instskip(SKIP_1) | instid1(VALU_DEP_1)
	v_sub_nc_u32_e32 v10, v6, v8
	s_wait_alu 0xfffd
	v_subrev_co_ci_u32_e64 v10, s2, s19, v10, vcc_lo
	v_add_co_u32 v11, s2, v4, 2
	s_wait_alu 0xf1ff
	v_add_co_ci_u32_e64 v12, s2, 0, v9, s2
	v_sub_co_u32 v13, s2, v7, s18
	v_sub_co_ci_u32_e32 v8, vcc_lo, v6, v8, vcc_lo
	s_wait_alu 0xf1ff
	v_subrev_co_ci_u32_e64 v10, s2, 0, v10, s2
	s_delay_alu instid0(VALU_DEP_3) | instskip(NEXT) | instid1(VALU_DEP_3)
	v_cmp_le_u32_e32 vcc_lo, s18, v13
	v_cmp_eq_u32_e64 s2, s19, v8
	s_wait_alu 0xfffd
	v_cndmask_b32_e64 v13, 0, -1, vcc_lo
	v_cmp_le_u32_e32 vcc_lo, s19, v10
	s_wait_alu 0xfffd
	v_cndmask_b32_e64 v14, 0, -1, vcc_lo
	v_cmp_le_u32_e32 vcc_lo, s18, v7
	;; [unrolled: 3-line block ×3, first 2 shown]
	s_wait_alu 0xfffd
	v_cndmask_b32_e64 v15, 0, -1, vcc_lo
	v_cmp_eq_u32_e32 vcc_lo, s19, v10
	s_wait_alu 0xf1ff
	s_delay_alu instid0(VALU_DEP_2)
	v_cndmask_b32_e64 v7, v15, v7, s2
	s_wait_alu 0xfffd
	v_cndmask_b32_e32 v10, v14, v13, vcc_lo
	v_add_co_u32 v13, vcc_lo, v4, 1
	s_wait_alu 0xfffd
	v_add_co_ci_u32_e32 v14, vcc_lo, 0, v9, vcc_lo
	s_delay_alu instid0(VALU_DEP_3) | instskip(SKIP_2) | instid1(VALU_DEP_3)
	v_cmp_ne_u32_e32 vcc_lo, 0, v10
	s_wait_alu 0xfffd
	v_cndmask_b32_e32 v10, v13, v11, vcc_lo
	v_cndmask_b32_e32 v8, v14, v12, vcc_lo
	v_cmp_ne_u32_e32 vcc_lo, 0, v7
	s_wait_alu 0xfffd
	s_delay_alu instid0(VALU_DEP_2)
	v_dual_cndmask_b32 v7, v4, v10 :: v_dual_cndmask_b32 v8, v9, v8
.LBB0_4:                                ;   in Loop: Header=BB0_2 Depth=1
	s_wait_alu 0xfffe
	s_and_not1_saveexec_b32 s2, s20
	s_cbranch_execz .LBB0_6
; %bb.5:                                ;   in Loop: Header=BB0_2 Depth=1
	v_cvt_f32_u32_e32 v4, s18
	s_sub_co_i32 s20, 0, s18
	s_delay_alu instid0(VALU_DEP_1) | instskip(NEXT) | instid1(TRANS32_DEP_1)
	v_rcp_iflag_f32_e32 v4, v4
	v_mul_f32_e32 v4, 0x4f7ffffe, v4
	s_delay_alu instid0(VALU_DEP_1) | instskip(SKIP_1) | instid1(VALU_DEP_1)
	v_cvt_u32_f32_e32 v4, v4
	s_wait_alu 0xfffe
	v_mul_lo_u32 v7, s20, v4
	s_delay_alu instid0(VALU_DEP_1) | instskip(NEXT) | instid1(VALU_DEP_1)
	v_mul_hi_u32 v7, v4, v7
	v_add_nc_u32_e32 v4, v4, v7
	s_delay_alu instid0(VALU_DEP_1) | instskip(NEXT) | instid1(VALU_DEP_1)
	v_mul_hi_u32 v4, v5, v4
	v_mul_lo_u32 v7, v4, s18
	v_add_nc_u32_e32 v8, 1, v4
	s_delay_alu instid0(VALU_DEP_2) | instskip(NEXT) | instid1(VALU_DEP_1)
	v_sub_nc_u32_e32 v7, v5, v7
	v_subrev_nc_u32_e32 v9, s18, v7
	v_cmp_le_u32_e32 vcc_lo, s18, v7
	s_wait_alu 0xfffd
	s_delay_alu instid0(VALU_DEP_2) | instskip(NEXT) | instid1(VALU_DEP_1)
	v_dual_cndmask_b32 v7, v7, v9 :: v_dual_cndmask_b32 v4, v4, v8
	v_cmp_le_u32_e32 vcc_lo, s18, v7
	s_delay_alu instid0(VALU_DEP_2) | instskip(SKIP_1) | instid1(VALU_DEP_1)
	v_add_nc_u32_e32 v8, 1, v4
	s_wait_alu 0xfffd
	v_dual_cndmask_b32 v7, v4, v8 :: v_dual_mov_b32 v8, v3
.LBB0_6:                                ;   in Loop: Header=BB0_2 Depth=1
	s_wait_alu 0xfffe
	s_or_b32 exec_lo, exec_lo, s2
	s_load_b64 s[20:21], s[12:13], 0x0
	s_delay_alu instid0(VALU_DEP_1)
	v_mul_lo_u32 v4, v8, s18
	v_mul_lo_u32 v11, v7, s19
	v_mad_co_u64_u32 v[9:10], null, v7, s18, 0
	s_add_nc_u64 s[14:15], s[14:15], 1
	s_add_nc_u64 s[12:13], s[12:13], 8
	s_wait_alu 0xfffe
	v_cmp_ge_u64_e64 s2, s[14:15], s[6:7]
	s_add_nc_u64 s[16:17], s[16:17], 8
	s_delay_alu instid0(VALU_DEP_2) | instskip(NEXT) | instid1(VALU_DEP_3)
	v_add3_u32 v4, v10, v11, v4
	v_sub_co_u32 v5, vcc_lo, v5, v9
	s_wait_alu 0xfffd
	s_delay_alu instid0(VALU_DEP_2) | instskip(SKIP_3) | instid1(VALU_DEP_2)
	v_sub_co_ci_u32_e32 v4, vcc_lo, v6, v4, vcc_lo
	s_and_b32 vcc_lo, exec_lo, s2
	s_wait_kmcnt 0x0
	v_mul_lo_u32 v6, s21, v5
	v_mul_lo_u32 v4, s20, v4
	v_mad_co_u64_u32 v[1:2], null, s20, v5, v[1:2]
	s_delay_alu instid0(VALU_DEP_1)
	v_add3_u32 v2, v6, v2, v4
	s_wait_alu 0xfffe
	s_cbranch_vccnz .LBB0_9
; %bb.7:                                ;   in Loop: Header=BB0_2 Depth=1
	v_dual_mov_b32 v5, v7 :: v_dual_mov_b32 v6, v8
	s_branch .LBB0_2
.LBB0_8:
	v_dual_mov_b32 v8, v6 :: v_dual_mov_b32 v7, v5
.LBB0_9:
	s_lshl_b64 s[2:3], s[6:7], 3
	v_mul_hi_u32 v5, 0x1745d18, v0
	s_wait_alu 0xfffe
	s_add_nc_u64 s[2:3], s[10:11], s[2:3]
	s_load_b64 s[2:3], s[2:3], 0x0
	s_load_b64 s[0:1], s[0:1], 0x20
	s_wait_kmcnt 0x0
	v_mul_lo_u32 v3, s2, v8
	v_mul_lo_u32 v4, s3, v7
	v_mad_co_u64_u32 v[1:2], null, s2, v7, v[1:2]
	v_cmp_gt_u64_e32 vcc_lo, s[0:1], v[7:8]
	s_delay_alu instid0(VALU_DEP_2) | instskip(SKIP_1) | instid1(VALU_DEP_2)
	v_add3_u32 v2, v4, v2, v3
	v_mul_u32_u24_e32 v3, 0xb0, v5
	v_lshlrev_b64_e32 v[82:83], 4, v[1:2]
	s_delay_alu instid0(VALU_DEP_2)
	v_sub_nc_u32_e32 v80, v0, v3
	s_and_saveexec_b32 s1, vcc_lo
	s_cbranch_execz .LBB0_13
; %bb.10:
	v_mov_b32_e32 v81, 0
	s_delay_alu instid0(VALU_DEP_3) | instskip(SKIP_2) | instid1(VALU_DEP_3)
	v_add_co_u32 v0, s0, s8, v82
	s_wait_alu 0xf1ff
	v_add_co_ci_u32_e64 v1, s0, s9, v83, s0
	v_lshlrev_b64_e32 v[2:3], 4, v[80:81]
	v_lshl_add_u32 v30, v80, 4, 0
	s_mov_b32 s2, exec_lo
	s_delay_alu instid0(VALU_DEP_2) | instskip(SKIP_1) | instid1(VALU_DEP_3)
	v_add_co_u32 v26, s0, v0, v2
	s_wait_alu 0xf1ff
	v_add_co_ci_u32_e64 v27, s0, v1, v3, s0
	s_clause 0x6
	global_load_b128 v[2:5], v[26:27], off
	global_load_b128 v[6:9], v[26:27], off offset:2816
	global_load_b128 v[10:13], v[26:27], off offset:5632
	;; [unrolled: 1-line block ×6, first 2 shown]
	s_wait_loadcnt 0x6
	ds_store_b128 v30, v[2:5]
	s_wait_loadcnt 0x5
	ds_store_b128 v30, v[6:9] offset:2816
	s_wait_loadcnt 0x4
	ds_store_b128 v30, v[10:13] offset:5632
	;; [unrolled: 2-line block ×6, first 2 shown]
	v_cmpx_eq_u32_e32 0xaf, v80
	s_cbranch_execz .LBB0_12
; %bb.11:
	global_load_b128 v[0:3], v[0:1], off offset:19712
	v_mov_b32_e32 v80, 0xaf
	s_wait_loadcnt 0x0
	ds_store_b128 v81, v[0:3] offset:19712
.LBB0_12:
	s_wait_alu 0xfffe
	s_or_b32 exec_lo, exec_lo, s2
.LBB0_13:
	s_wait_alu 0xfffe
	s_or_b32 exec_lo, exec_lo, s1
	v_lshlrev_b32_e32 v34, 4, v80
	global_wb scope:SCOPE_SE
	s_wait_dscnt 0x0
	s_barrier_signal -1
	s_barrier_wait -1
	global_inv scope:SCOPE_SE
	v_add_nc_u32_e32 v84, 0, v34
	v_sub_nc_u32_e32 v6, 0, v34
	s_mov_b32 s1, exec_lo
	ds_load_b64 v[2:3], v84
	ds_load_b64 v[4:5], v6 offset:19712
	s_wait_dscnt 0x0
	v_add_f64_e32 v[0:1], v[2:3], v[4:5]
	v_add_f64_e64 v[2:3], v[2:3], -v[4:5]
                                        ; implicit-def: $vgpr4_vgpr5
	v_cmpx_ne_u32_e32 0, v80
	s_wait_alu 0xfffe
	s_xor_b32 s1, exec_lo, s1
	s_cbranch_execz .LBB0_15
; %bb.14:
	v_mov_b32_e32 v81, 0
	s_delay_alu instid0(VALU_DEP_1) | instskip(NEXT) | instid1(VALU_DEP_1)
	v_lshlrev_b64_e32 v[4:5], 4, v[80:81]
	v_add_co_u32 v4, s0, s4, v4
	s_wait_alu 0xf1ff
	s_delay_alu instid0(VALU_DEP_2)
	v_add_co_ci_u32_e64 v5, s0, s5, v5, s0
	global_load_b128 v[7:10], v[4:5], off offset:19680
	ds_load_b64 v[4:5], v6 offset:19720
	ds_load_b64 v[11:12], v84 offset:8
	s_wait_dscnt 0x0
	v_add_f64_e32 v[13:14], v[4:5], v[11:12]
	v_add_f64_e64 v[4:5], v[11:12], -v[4:5]
	s_wait_loadcnt 0x0
	v_fma_f64 v[11:12], v[2:3], v[9:10], v[0:1]
	s_delay_alu instid0(VALU_DEP_2) | instskip(SKIP_2) | instid1(VALU_DEP_4)
	v_fma_f64 v[15:16], v[13:14], v[9:10], v[4:5]
	v_fma_f64 v[0:1], -v[2:3], v[9:10], v[0:1]
	v_fma_f64 v[4:5], v[13:14], v[9:10], -v[4:5]
	v_fma_f64 v[9:10], -v[13:14], v[7:8], v[11:12]
	s_delay_alu instid0(VALU_DEP_4) | instskip(NEXT) | instid1(VALU_DEP_4)
	v_fma_f64 v[11:12], v[2:3], v[7:8], v[15:16]
	v_fma_f64 v[0:1], v[13:14], v[7:8], v[0:1]
	s_delay_alu instid0(VALU_DEP_4)
	v_fma_f64 v[2:3], v[2:3], v[7:8], v[4:5]
	v_dual_mov_b32 v4, v80 :: v_dual_mov_b32 v5, v81
	ds_store_b128 v84, v[9:12]
	ds_store_b128 v6, v[0:3] offset:19712
                                        ; implicit-def: $vgpr0_vgpr1
.LBB0_15:
	s_wait_alu 0xfffe
	s_and_not1_saveexec_b32 s0, s1
	s_cbranch_execz .LBB0_17
; %bb.16:
	v_dual_mov_b32 v7, 0 :: v_dual_mov_b32 v4, 0
	ds_store_b128 v84, v[0:3]
	v_mov_b32_e32 v5, 0
	ds_load_b128 v[0:3], v7 offset:9856
	s_wait_dscnt 0x0
	v_add_f64_e32 v[0:1], v[0:1], v[0:1]
	v_mul_f64_e32 v[2:3], -2.0, v[2:3]
	ds_store_b128 v7, v[0:3] offset:9856
.LBB0_17:
	s_wait_alu 0xfffe
	s_or_b32 exec_lo, exec_lo, s0
	v_lshlrev_b64_e32 v[0:1], 4, v[4:5]
	s_add_nc_u64 s[0:1], s[4:5], 0x4ce0
	s_wait_alu 0xfffe
	s_delay_alu instid0(VALU_DEP_1) | instskip(SKIP_1) | instid1(VALU_DEP_2)
	v_add_co_u32 v0, s0, s0, v0
	s_wait_alu 0xf1ff
	v_add_co_ci_u32_e64 v1, s0, s1, v1, s0
	v_cmp_gt_u32_e64 s0, 0x58, v80
	s_clause 0x1
	global_load_b128 v[2:5], v[0:1], off offset:2816
	global_load_b128 v[7:10], v[0:1], off offset:5632
	ds_load_b128 v[11:14], v84 offset:2816
	ds_load_b128 v[15:18], v6 offset:16896
	s_wait_dscnt 0x0
	v_add_f64_e32 v[19:20], v[11:12], v[15:16]
	v_add_f64_e32 v[21:22], v[17:18], v[13:14]
	v_add_f64_e64 v[23:24], v[11:12], -v[15:16]
	v_add_f64_e64 v[11:12], v[13:14], -v[17:18]
	s_wait_loadcnt 0x1
	s_delay_alu instid0(VALU_DEP_2) | instskip(NEXT) | instid1(VALU_DEP_2)
	v_fma_f64 v[13:14], v[23:24], v[4:5], v[19:20]
	v_fma_f64 v[15:16], v[21:22], v[4:5], v[11:12]
	v_fma_f64 v[17:18], -v[23:24], v[4:5], v[19:20]
	v_fma_f64 v[4:5], v[21:22], v[4:5], -v[11:12]
	s_delay_alu instid0(VALU_DEP_4) | instskip(NEXT) | instid1(VALU_DEP_4)
	v_fma_f64 v[11:12], -v[21:22], v[2:3], v[13:14]
	v_fma_f64 v[13:14], v[23:24], v[2:3], v[15:16]
	s_delay_alu instid0(VALU_DEP_4) | instskip(NEXT) | instid1(VALU_DEP_4)
	v_fma_f64 v[15:16], v[21:22], v[2:3], v[17:18]
	v_fma_f64 v[17:18], v[23:24], v[2:3], v[4:5]
	ds_store_b128 v84, v[11:14] offset:2816
	ds_store_b128 v6, v[15:18] offset:16896
	ds_load_b128 v[2:5], v84 offset:5632
	ds_load_b128 v[11:14], v6 offset:14080
	s_wait_dscnt 0x0
	v_add_f64_e32 v[15:16], v[2:3], v[11:12]
	v_add_f64_e32 v[17:18], v[13:14], v[4:5]
	v_add_f64_e64 v[11:12], v[2:3], -v[11:12]
	v_add_f64_e64 v[2:3], v[4:5], -v[13:14]
	s_wait_loadcnt 0x0
	s_delay_alu instid0(VALU_DEP_2) | instskip(NEXT) | instid1(VALU_DEP_2)
	v_fma_f64 v[4:5], v[11:12], v[9:10], v[15:16]
	v_fma_f64 v[13:14], v[17:18], v[9:10], v[2:3]
	v_fma_f64 v[15:16], -v[11:12], v[9:10], v[15:16]
	v_fma_f64 v[19:20], v[17:18], v[9:10], -v[2:3]
	s_delay_alu instid0(VALU_DEP_4) | instskip(NEXT) | instid1(VALU_DEP_4)
	v_fma_f64 v[2:3], -v[17:18], v[7:8], v[4:5]
	v_fma_f64 v[4:5], v[11:12], v[7:8], v[13:14]
	s_delay_alu instid0(VALU_DEP_4) | instskip(NEXT) | instid1(VALU_DEP_4)
	v_fma_f64 v[9:10], v[17:18], v[7:8], v[15:16]
	v_fma_f64 v[11:12], v[11:12], v[7:8], v[19:20]
	ds_store_b128 v84, v[2:5] offset:5632
	ds_store_b128 v6, v[9:12] offset:14080
	s_and_saveexec_b32 s1, s0
	s_cbranch_execz .LBB0_19
; %bb.18:
	global_load_b128 v[0:3], v[0:1], off offset:8448
	ds_load_b128 v[7:10], v84 offset:8448
	ds_load_b128 v[11:14], v6 offset:11264
	s_wait_dscnt 0x0
	v_add_f64_e32 v[4:5], v[7:8], v[11:12]
	v_add_f64_e32 v[15:16], v[13:14], v[9:10]
	v_add_f64_e64 v[11:12], v[7:8], -v[11:12]
	v_add_f64_e64 v[7:8], v[9:10], -v[13:14]
	s_wait_loadcnt 0x0
	s_delay_alu instid0(VALU_DEP_2) | instskip(NEXT) | instid1(VALU_DEP_2)
	v_fma_f64 v[9:10], v[11:12], v[2:3], v[4:5]
	v_fma_f64 v[13:14], v[15:16], v[2:3], v[7:8]
	v_fma_f64 v[17:18], -v[11:12], v[2:3], v[4:5]
	v_fma_f64 v[19:20], v[15:16], v[2:3], -v[7:8]
	s_delay_alu instid0(VALU_DEP_4) | instskip(NEXT) | instid1(VALU_DEP_4)
	v_fma_f64 v[2:3], -v[15:16], v[0:1], v[9:10]
	v_fma_f64 v[4:5], v[11:12], v[0:1], v[13:14]
	s_delay_alu instid0(VALU_DEP_4) | instskip(NEXT) | instid1(VALU_DEP_4)
	v_fma_f64 v[7:8], v[15:16], v[0:1], v[17:18]
	v_fma_f64 v[9:10], v[11:12], v[0:1], v[19:20]
	ds_store_b128 v84, v[2:5] offset:8448
	ds_store_b128 v6, v[7:10] offset:11264
.LBB0_19:
	s_wait_alu 0xfffe
	s_or_b32 exec_lo, exec_lo, s1
	global_wb scope:SCOPE_SE
	s_wait_dscnt 0x0
	s_barrier_signal -1
	s_barrier_wait -1
	global_inv scope:SCOPE_SE
	global_wb scope:SCOPE_SE
	s_barrier_signal -1
	s_barrier_wait -1
	global_inv scope:SCOPE_SE
	ds_load_b128 v[0:3], v84 offset:9856
	ds_load_b128 v[8:11], v84
	ds_load_b128 v[12:15], v84 offset:2816
	ds_load_b128 v[4:7], v84 offset:12672
	;; [unrolled: 1-line block ×6, first 2 shown]
	v_add_nc_u32_e32 v32, 0xb0, v80
	v_add_nc_u32_e32 v35, 0x160, v80
	;; [unrolled: 1-line block ×4, first 2 shown]
	global_wb scope:SCOPE_SE
	s_wait_dscnt 0x0
	s_barrier_signal -1
	s_barrier_wait -1
	global_inv scope:SCOPE_SE
	v_add_f64_e64 v[38:39], v[8:9], -v[0:1]
	v_add_f64_e64 v[40:41], v[10:11], -v[2:3]
	;; [unrolled: 1-line block ×8, first 2 shown]
	v_fma_f64 v[8:9], v[8:9], 2.0, -v[38:39]
	v_fma_f64 v[10:11], v[10:11], 2.0, -v[40:41]
	;; [unrolled: 1-line block ×8, first 2 shown]
	v_lshl_add_u32 v24, v32, 5, 0
	v_lshl_add_u32 v25, v35, 5, 0
	ds_store_b128 v37, v[8:11]
	ds_store_b128 v37, v[38:41] offset:16
	ds_store_b128 v24, v[12:15]
	ds_store_b128 v24, v[42:45] offset:16
	;; [unrolled: 2-line block ×3, first 2 shown]
	s_and_saveexec_b32 s1, s0
	s_cbranch_execz .LBB0_21
; %bb.20:
	v_lshl_add_u32 v8, v36, 5, 0
	ds_store_b128 v8, v[0:3]
	ds_store_b128 v8, v[4:7] offset:16
.LBB0_21:
	s_wait_alu 0xfffe
	s_or_b32 exec_lo, exec_lo, s1
	global_wb scope:SCOPE_SE
	s_wait_dscnt 0x0
	s_barrier_signal -1
	s_barrier_wait -1
	global_inv scope:SCOPE_SE
	ds_load_b128 v[8:11], v84
	ds_load_b128 v[12:15], v84 offset:2816
	ds_load_b128 v[20:23], v84 offset:9856
	;; [unrolled: 1-line block ×5, first 2 shown]
	v_lshlrev_b32_e32 v33, 1, v32
	v_lshlrev_b32_e32 v32, 1, v35
	v_sub_nc_u32_e32 v37, v37, v34
	s_and_saveexec_b32 s1, s0
	s_cbranch_execz .LBB0_23
; %bb.22:
	ds_load_b128 v[0:3], v37 offset:8448
	ds_load_b128 v[4:7], v84 offset:18304
.LBB0_23:
	s_wait_alu 0xfffe
	s_or_b32 exec_lo, exec_lo, s1
	v_and_b32_e32 v38, 1, v80
	s_delay_alu instid0(VALU_DEP_1)
	v_lshlrev_b32_e32 v34, 4, v38
	global_load_b128 v[39:42], v34, s[4:5]
	global_wb scope:SCOPE_SE
	s_wait_loadcnt_dscnt 0x0
	s_barrier_signal -1
	s_barrier_wait -1
	global_inv scope:SCOPE_SE
	v_mul_f64_e32 v[34:35], v[22:23], v[41:42]
	v_mul_f64_e32 v[43:44], v[20:21], v[41:42]
	v_mul_f64_e32 v[45:46], v[30:31], v[41:42]
	v_mul_f64_e32 v[47:48], v[28:29], v[41:42]
	v_mul_f64_e32 v[49:50], v[26:27], v[41:42]
	v_mul_f64_e32 v[51:52], v[24:25], v[41:42]
	v_mul_f64_e32 v[53:54], v[6:7], v[41:42]
	v_mul_f64_e32 v[41:42], v[4:5], v[41:42]
	v_fma_f64 v[20:21], v[20:21], v[39:40], -v[34:35]
	v_fma_f64 v[22:23], v[22:23], v[39:40], v[43:44]
	v_fma_f64 v[28:29], v[28:29], v[39:40], -v[45:46]
	v_fma_f64 v[30:31], v[30:31], v[39:40], v[47:48]
	;; [unrolled: 2-line block ×4, first 2 shown]
	v_and_or_b32 v39, 0x3fc, v33, v38
	v_and_or_b32 v40, 0x7fc, v32, v38
	s_delay_alu instid0(VALU_DEP_2) | instskip(NEXT) | instid1(VALU_DEP_2)
	v_lshl_add_u32 v39, v39, 4, 0
	v_lshl_add_u32 v40, v40, 4, 0
	v_add_f64_e64 v[20:21], v[8:9], -v[20:21]
	v_add_f64_e64 v[22:23], v[10:11], -v[22:23]
	v_add_f64_e64 v[24:25], v[12:13], -v[28:29]
	v_add_f64_e64 v[26:27], v[14:15], -v[30:31]
	v_add_f64_e64 v[28:29], v[16:17], -v[34:35]
	v_add_f64_e64 v[30:31], v[18:19], -v[43:44]
	v_add_f64_e64 v[4:5], v[0:1], -v[4:5]
	v_add_f64_e64 v[6:7], v[2:3], -v[6:7]
	v_lshlrev_b32_e32 v35, 1, v80
	v_lshlrev_b32_e32 v34, 1, v36
	s_delay_alu instid0(VALU_DEP_2) | instskip(NEXT) | instid1(VALU_DEP_1)
	v_and_or_b32 v36, 0x1fc, v35, v38
	v_lshl_add_u32 v36, v36, 4, 0
	v_fma_f64 v[8:9], v[8:9], 2.0, -v[20:21]
	v_fma_f64 v[10:11], v[10:11], 2.0, -v[22:23]
	;; [unrolled: 1-line block ×8, first 2 shown]
	ds_store_b128 v36, v[8:11]
	ds_store_b128 v36, v[20:23] offset:32
	ds_store_b128 v39, v[12:15]
	ds_store_b128 v39, v[24:27] offset:32
	;; [unrolled: 2-line block ×3, first 2 shown]
	s_and_saveexec_b32 s1, s0
	s_cbranch_execz .LBB0_25
; %bb.24:
	v_and_or_b32 v8, 0x5fc, v34, v38
	s_delay_alu instid0(VALU_DEP_1)
	v_lshl_add_u32 v8, v8, 4, 0
	ds_store_b128 v8, v[0:3]
	ds_store_b128 v8, v[4:7] offset:32
.LBB0_25:
	s_wait_alu 0xfffe
	s_or_b32 exec_lo, exec_lo, s1
	global_wb scope:SCOPE_SE
	s_wait_dscnt 0x0
	s_barrier_signal -1
	s_barrier_wait -1
	global_inv scope:SCOPE_SE
	ds_load_b128 v[8:11], v84
	ds_load_b128 v[12:15], v84 offset:2816
	ds_load_b128 v[20:23], v84 offset:9856
	;; [unrolled: 1-line block ×5, first 2 shown]
	s_and_saveexec_b32 s1, s0
	s_cbranch_execz .LBB0_27
; %bb.26:
	ds_load_b128 v[0:3], v37 offset:8448
	ds_load_b128 v[4:7], v84 offset:18304
.LBB0_27:
	s_wait_alu 0xfffe
	s_or_b32 exec_lo, exec_lo, s1
	v_and_b32_e32 v36, 3, v80
	s_delay_alu instid0(VALU_DEP_1)
	v_lshlrev_b32_e32 v37, 4, v36
	global_load_b128 v[37:40], v37, s[4:5] offset:32
	global_wb scope:SCOPE_SE
	s_wait_loadcnt_dscnt 0x0
	s_barrier_signal -1
	s_barrier_wait -1
	global_inv scope:SCOPE_SE
	v_mul_f64_e32 v[41:42], v[22:23], v[39:40]
	v_mul_f64_e32 v[43:44], v[20:21], v[39:40]
	;; [unrolled: 1-line block ×8, first 2 shown]
	v_fma_f64 v[20:21], v[20:21], v[37:38], -v[41:42]
	v_fma_f64 v[22:23], v[22:23], v[37:38], v[43:44]
	v_fma_f64 v[28:29], v[28:29], v[37:38], -v[45:46]
	v_fma_f64 v[30:31], v[30:31], v[37:38], v[47:48]
	;; [unrolled: 2-line block ×4, first 2 shown]
	v_add_f64_e64 v[24:25], v[8:9], -v[20:21]
	v_add_f64_e64 v[26:27], v[10:11], -v[22:23]
	;; [unrolled: 1-line block ×8, first 2 shown]
	v_fma_f64 v[8:9], v[8:9], 2.0, -v[24:25]
	v_fma_f64 v[10:11], v[10:11], 2.0, -v[26:27]
	;; [unrolled: 1-line block ×8, first 2 shown]
	v_and_or_b32 v0, 0x1f8, v35, v36
	v_and_or_b32 v1, 0x3f8, v33, v36
	;; [unrolled: 1-line block ×3, first 2 shown]
	s_delay_alu instid0(VALU_DEP_3) | instskip(NEXT) | instid1(VALU_DEP_3)
	v_lshl_add_u32 v0, v0, 4, 0
	v_lshl_add_u32 v1, v1, 4, 0
	s_delay_alu instid0(VALU_DEP_3)
	v_lshl_add_u32 v2, v2, 4, 0
	ds_store_b128 v0, v[8:11]
	ds_store_b128 v0, v[24:27] offset:64
	ds_store_b128 v1, v[12:15]
	ds_store_b128 v1, v[28:31] offset:64
	;; [unrolled: 2-line block ×3, first 2 shown]
	s_and_saveexec_b32 s1, s0
	s_cbranch_execz .LBB0_29
; %bb.28:
	v_and_or_b32 v0, 0x5f8, v34, v36
	s_delay_alu instid0(VALU_DEP_1)
	v_lshl_add_u32 v0, v0, 4, 0
	ds_store_b128 v0, v[20:23]
	ds_store_b128 v0, v[4:7] offset:64
.LBB0_29:
	s_wait_alu 0xfffe
	s_or_b32 exec_lo, exec_lo, s1
	global_wb scope:SCOPE_SE
	s_wait_dscnt 0x0
	s_barrier_signal -1
	s_barrier_wait -1
	global_inv scope:SCOPE_SE
	ds_load_b128 v[0:3], v84
	ds_load_b128 v[12:15], v84 offset:2816
	ds_load_b128 v[8:11], v84 offset:9856
	;; [unrolled: 1-line block ×5, first 2 shown]
	s_and_saveexec_b32 s1, s0
	s_cbranch_execz .LBB0_31
; %bb.30:
	ds_load_b128 v[20:23], v84 offset:8448
	ds_load_b128 v[4:7], v84 offset:18304
.LBB0_31:
	s_wait_alu 0xfffe
	s_or_b32 exec_lo, exec_lo, s1
	v_and_b32_e32 v36, 7, v80
	s_delay_alu instid0(VALU_DEP_1)
	v_lshlrev_b32_e32 v37, 4, v36
	global_load_b128 v[37:40], v37, s[4:5] offset:96
	global_wb scope:SCOPE_SE
	s_wait_loadcnt_dscnt 0x0
	s_barrier_signal -1
	s_barrier_wait -1
	global_inv scope:SCOPE_SE
	v_mul_f64_e32 v[41:42], v[10:11], v[39:40]
	v_mul_f64_e32 v[43:44], v[8:9], v[39:40]
	;; [unrolled: 1-line block ×8, first 2 shown]
	v_fma_f64 v[8:9], v[8:9], v[37:38], -v[41:42]
	v_fma_f64 v[10:11], v[10:11], v[37:38], v[43:44]
	v_fma_f64 v[28:29], v[28:29], v[37:38], -v[45:46]
	v_fma_f64 v[30:31], v[30:31], v[37:38], v[47:48]
	;; [unrolled: 2-line block ×4, first 2 shown]
	v_add_f64_e64 v[40:41], v[0:1], -v[8:9]
	v_add_f64_e64 v[42:43], v[2:3], -v[10:11]
	;; [unrolled: 1-line block ×8, first 2 shown]
	v_and_or_b32 v28, 0x1f0, v35, v36
	v_and_or_b32 v29, 0x3f0, v33, v36
	;; [unrolled: 1-line block ×3, first 2 shown]
	s_delay_alu instid0(VALU_DEP_3) | instskip(NEXT) | instid1(VALU_DEP_3)
	v_lshl_add_u32 v28, v28, 4, 0
	v_lshl_add_u32 v29, v29, 4, 0
	s_delay_alu instid0(VALU_DEP_3)
	v_lshl_add_u32 v30, v30, 4, 0
	v_fma_f64 v[0:1], v[0:1], 2.0, -v[40:41]
	v_fma_f64 v[2:3], v[2:3], 2.0, -v[42:43]
	;; [unrolled: 1-line block ×8, first 2 shown]
	ds_store_b128 v28, v[0:3]
	ds_store_b128 v28, v[40:43] offset:128
	ds_store_b128 v29, v[12:15]
	ds_store_b128 v29, v[4:7] offset:128
	;; [unrolled: 2-line block ×3, first 2 shown]
	s_and_saveexec_b32 s1, s0
	s_cbranch_execz .LBB0_33
; %bb.32:
	v_and_or_b32 v28, 0x5f0, v34, v36
	s_delay_alu instid0(VALU_DEP_1)
	v_lshl_add_u32 v28, v28, 4, 0
	ds_store_b128 v28, v[20:23]
	ds_store_b128 v28, v[24:27] offset:128
.LBB0_33:
	s_wait_alu 0xfffe
	s_or_b32 exec_lo, exec_lo, s1
	v_cmp_gt_u32_e64 s0, 0x70, v80
	global_wb scope:SCOPE_SE
	s_wait_dscnt 0x0
	s_barrier_signal -1
	s_barrier_wait -1
	global_inv scope:SCOPE_SE
                                        ; implicit-def: $vgpr38_vgpr39
                                        ; implicit-def: $vgpr34_vgpr35
                                        ; implicit-def: $vgpr30_vgpr31
	s_and_saveexec_b32 s1, s0
	s_cbranch_execz .LBB0_35
; %bb.34:
	ds_load_b128 v[0:3], v84
	ds_load_b128 v[40:43], v84 offset:1792
	ds_load_b128 v[12:15], v84 offset:3584
	;; [unrolled: 1-line block ×10, first 2 shown]
.LBB0_35:
	s_wait_alu 0xfffe
	s_or_b32 exec_lo, exec_lo, s1
	global_wb scope:SCOPE_SE
	s_wait_dscnt 0x0
	s_barrier_signal -1
	s_barrier_wait -1
	global_inv scope:SCOPE_SE
	s_and_saveexec_b32 s33, s0
	s_cbranch_execz .LBB0_37
; %bb.36:
	v_and_b32_e32 v81, 15, v80
	s_mov_b32 s2, 0xd9c712b6
	s_mov_b32 s10, 0x8eee2c13
	;; [unrolled: 1-line block ×4, first 2 shown]
	v_mul_u32_u24_e32 v44, 10, v81
	s_mov_b32 s16, 0x9bcd5057
	s_mov_b32 s20, 0xfd768dbf
	;; [unrolled: 1-line block ×4, first 2 shown]
	v_lshlrev_b32_e32 v72, 4, v44
	s_mov_b32 s3, 0x3fda9628
	s_mov_b32 s11, 0xbfed1bb4
	;; [unrolled: 1-line block ×4, first 2 shown]
	s_clause 0x9
	global_load_b128 v[85:88], v72, s[4:5] offset:224
	global_load_b128 v[76:79], v72, s[4:5] offset:240
	;; [unrolled: 1-line block ×10, first 2 shown]
	s_mov_b32 s17, 0xbfeeb42a
	s_mov_b32 s21, 0x3fd207e7
	;; [unrolled: 1-line block ×4, first 2 shown]
	s_wait_alu 0xfffe
	s_mov_b32 s24, s18
	s_mov_b32 s22, s20
	;; [unrolled: 1-line block ×13, first 2 shown]
	s_wait_alu 0xfffe
	s_mov_b32 s28, s26
	s_wait_loadcnt 0x9
	v_mul_f64_e32 v[89:90], v[40:41], v[87:88]
	v_mul_f64_e32 v[87:88], v[42:43], v[87:88]
	s_wait_loadcnt 0x8
	v_mul_f64_e32 v[91:92], v[12:13], v[78:79]
	v_mul_f64_e32 v[78:79], v[14:15], v[78:79]
	;; [unrolled: 3-line block ×3, first 2 shown]
	s_wait_loadcnt 0x5
	v_mul_f64_e32 v[95:96], v[20:21], v[62:63]
	s_wait_loadcnt 0x2
	v_mul_f64_e32 v[97:98], v[4:5], v[54:55]
	;; [unrolled: 2-line block ×3, first 2 shown]
	v_mul_f64_e32 v[54:55], v[6:7], v[54:55]
	v_mul_f64_e32 v[46:47], v[30:31], v[46:47]
	s_wait_loadcnt 0x0
	v_mul_f64_e32 v[101:102], v[32:33], v[74:75]
	v_mul_f64_e32 v[74:75], v[34:35], v[74:75]
	;; [unrolled: 1-line block ×3, first 2 shown]
	v_fma_f64 v[42:43], v[42:43], v[85:86], v[89:90]
	v_fma_f64 v[40:41], v[40:41], v[85:86], -v[87:88]
	v_mul_f64_e32 v[89:90], v[36:37], v[66:67]
	v_mul_f64_e32 v[85:86], v[16:17], v[50:51]
	;; [unrolled: 1-line block ×6, first 2 shown]
	v_fma_f64 v[91:92], v[14:15], v[76:77], v[91:92]
	v_fma_f64 v[76:77], v[12:13], v[76:77], -v[78:79]
	v_fma_f64 v[12:13], v[28:29], v[44:45], -v[46:47]
	v_fma_f64 v[22:23], v[22:23], v[60:61], v[95:96]
	v_fma_f64 v[20:21], v[20:21], v[60:61], -v[62:63]
	v_add_f64_e32 v[103:104], v[2:3], v[42:43]
	v_add_f64_e32 v[78:79], v[0:1], v[40:41]
	v_fma_f64 v[14:15], v[38:39], v[64:65], v[89:90]
	v_fma_f64 v[38:39], v[10:11], v[68:69], v[93:94]
	;; [unrolled: 1-line block ×4, first 2 shown]
	v_fma_f64 v[26:27], v[8:9], v[68:69], -v[70:71]
	v_fma_f64 v[8:9], v[36:37], v[64:65], -v[66:67]
	v_fma_f64 v[36:37], v[6:7], v[52:53], v[97:98]
	v_fma_f64 v[10:11], v[30:31], v[44:45], v[99:100]
	v_fma_f64 v[30:31], v[16:17], v[48:49], -v[50:51]
	v_fma_f64 v[16:17], v[24:25], v[56:57], -v[58:59]
	;; [unrolled: 1-line block ×3, first 2 shown]
	v_fma_f64 v[4:5], v[34:35], v[72:73], v[101:102]
	v_fma_f64 v[6:7], v[32:33], v[72:73], -v[74:75]
	v_add_f64_e32 v[28:29], v[103:104], v[91:92]
	v_add_f64_e32 v[44:45], v[78:79], v[76:77]
	;; [unrolled: 1-line block ×3, first 2 shown]
	v_add_f64_e64 v[34:35], v[42:43], -v[14:15]
	v_add_f64_e32 v[42:43], v[38:39], v[22:23]
	v_add_f64_e32 v[46:47], v[85:86], v[18:19]
	v_add_f64_e64 v[72:73], v[85:86], -v[18:19]
	v_add_f64_e64 v[50:51], v[40:41], -v[8:9]
	v_add_f64_e32 v[40:41], v[40:41], v[8:9]
	v_add_f64_e32 v[48:49], v[36:37], v[10:11]
	v_add_f64_e64 v[66:67], v[36:37], -v[10:11]
	v_add_f64_e64 v[54:55], v[30:31], -v[16:17]
	;; [unrolled: 1-line block ×3, first 2 shown]
	v_add_f64_e32 v[56:57], v[91:92], v[4:5]
	v_add_f64_e64 v[60:61], v[76:77], -v[6:7]
	v_add_f64_e64 v[62:63], v[91:92], -v[4:5]
	v_add_f64_e32 v[64:65], v[76:77], v[6:7]
	v_add_f64_e32 v[74:75], v[30:31], v[16:17]
	v_add_f64_e64 v[52:53], v[26:27], -v[20:21]
	v_add_f64_e64 v[68:69], v[38:39], -v[22:23]
	v_add_f64_e32 v[70:71], v[26:27], v[20:21]
	v_add_f64_e32 v[28:29], v[28:29], v[36:37]
	;; [unrolled: 1-line block ×4, first 2 shown]
	v_mul_f64_e32 v[76:77], s[16:17], v[32:33]
	v_mul_f64_e32 v[78:79], s[22:23], v[34:35]
	;; [unrolled: 1-line block ×35, first 2 shown]
	v_add_f64_e32 v[28:29], v[28:29], v[85:86]
	v_mul_f64_e32 v[85:86], s[6:7], v[62:63]
	v_add_f64_e32 v[24:25], v[24:25], v[30:31]
	v_fma_f64 v[153:154], v[50:51], s[20:21], v[76:77]
	v_fma_f64 v[30:31], v[40:41], s[16:17], v[78:79]
	;; [unrolled: 1-line block ×6, first 2 shown]
	v_fma_f64 v[89:90], v[40:41], s[12:13], -v[89:90]
	v_fma_f64 v[163:164], v[50:51], s[34:35], v[95:96]
	v_fma_f64 v[165:166], v[40:41], s[2:3], v[97:98]
	;; [unrolled: 1-line block ×3, first 2 shown]
	v_fma_f64 v[97:98], v[40:41], s[2:3], -v[97:98]
	v_mul_f64_e32 v[62:63], s[10:11], v[62:63]
	v_fma_f64 v[78:79], v[40:41], s[16:17], -v[78:79]
	v_fma_f64 v[159:160], v[50:51], s[6:7], v[91:92]
	v_fma_f64 v[161:162], v[40:41], s[0:1], v[93:94]
	v_fma_f64 v[91:92], v[50:51], s[30:31], v[91:92]
	v_fma_f64 v[93:94], v[40:41], s[0:1], -v[93:94]
	v_fma_f64 v[167:168], v[50:51], s[28:29], v[32:33]
	v_fma_f64 v[32:33], v[50:51], s[26:27], v[32:33]
	v_fma_f64 v[50:51], v[40:41], s[14:15], v[34:35]
	;; [unrolled: 4-line block ×3, first 2 shown]
	v_fma_f64 v[171:172], v[58:59], s[22:23], v[119:120]
	v_fma_f64 v[119:120], v[58:59], s[20:21], v[119:120]
	;; [unrolled: 1-line block ×10, first 2 shown]
	v_fma_f64 v[133:134], v[64:65], s[12:13], -v[133:134]
	v_add_f64_e32 v[28:29], v[28:29], v[38:39]
	v_fma_f64 v[38:39], v[58:59], s[24:25], v[113:114]
	v_add_f64_e32 v[24:25], v[24:25], v[26:27]
	v_fma_f64 v[113:114], v[58:59], s[28:29], v[115:116]
	v_fma_f64 v[115:116], v[58:59], s[26:27], v[115:116]
	;; [unrolled: 1-line block ×9, first 2 shown]
	v_fma_f64 v[85:86], v[64:65], s[0:1], -v[85:86]
	v_add_f64_e32 v[30:31], v[0:1], v[30:31]
	v_add_f64_e32 v[76:77], v[2:3], v[76:77]
	;; [unrolled: 1-line block ×7, first 2 shown]
	v_fma_f64 v[129:130], v[64:65], s[14:15], -v[129:130]
	v_fma_f64 v[183:184], v[64:65], s[16:17], v[131:132]
	v_add_f64_e32 v[153:154], v[2:3], v[153:154]
	v_fma_f64 v[131:132], v[64:65], s[16:17], -v[131:132]
	v_fma_f64 v[187:188], v[64:65], s[2:3], v[62:63]
	v_fma_f64 v[62:63], v[64:65], s[2:3], -v[62:63]
	v_add_f64_e32 v[64:65], v[0:1], v[78:79]
	v_add_f64_e32 v[155:156], v[2:3], v[155:156]
	;; [unrolled: 1-line block ×13, first 2 shown]
	v_mul_f64_e32 v[147:148], s[26:27], v[72:73]
	v_add_f64_e32 v[20:21], v[24:25], v[20:21]
	v_mul_f64_e32 v[149:150], s[6:7], v[72:73]
	v_mul_f64_e32 v[72:73], s[24:25], v[72:73]
	v_fma_f64 v[78:79], v[36:37], s[12:13], v[135:136]
	v_fma_f64 v[28:29], v[36:37], s[14:15], v[137:138]
	v_fma_f64 v[137:138], v[36:37], s[14:15], -v[137:138]
	v_fma_f64 v[24:25], v[36:37], s[2:3], v[139:140]
	v_fma_f64 v[34:35], v[36:37], s[2:3], -v[139:140]
	v_fma_f64 v[139:140], v[36:37], s[16:17], -v[141:142]
	;; [unrolled: 1-line block ×3, first 2 shown]
	v_fma_f64 v[50:51], v[36:37], s[16:17], v[141:142]
	v_add_f64_e32 v[30:31], v[60:61], v[30:31]
	v_add_f64_e32 v[76:77], v[121:122], v[76:77]
	;; [unrolled: 1-line block ×7, first 2 shown]
	v_fma_f64 v[141:142], v[36:37], s[0:1], v[66:67]
	v_fma_f64 v[36:37], v[36:37], s[0:1], -v[66:67]
	v_add_f64_e32 v[58:59], v[58:59], v[153:154]
	v_mul_f64_e32 v[99:100], s[0:1], v[42:43]
	v_mul_f64_e32 v[44:45], s[2:3], v[42:43]
	;; [unrolled: 1-line block ×3, first 2 shown]
	v_add_f64_e32 v[64:65], v[129:130], v[64:65]
	v_add_f64_e32 v[155:156], v[175:176], v[155:156]
	v_add_f64_e32 v[91:92], v[125:126], v[91:92]
	v_add_f64_e32 v[93:94], v[131:132], v[93:94]
	v_add_f64_e32 v[89:90], v[177:178], v[159:160]
	v_add_f64_e32 v[97:98], v[183:184], v[161:162]
	v_add_f64_e32 v[123:124], v[179:180], v[163:164]
	v_add_f64_e32 v[125:126], v[185:186], v[165:166]
	v_add_f64_e32 v[127:128], v[127:128], v[167:168]
	v_add_f64_e32 v[2:3], v[56:57], v[2:3]
	v_add_f64_e32 v[32:33], v[62:63], v[32:33]
	v_add_f64_e32 v[0:1], v[187:188], v[0:1]
	v_add_f64_e32 v[18:19], v[22:23], v[18:19]
	v_mul_f64_e32 v[103:104], s[14:15], v[42:43]
	v_add_f64_e32 v[16:17], v[20:21], v[16:17]
	v_mul_f64_e32 v[42:43], s[16:17], v[42:43]
	v_mul_f64_e32 v[151:152], s[30:31], v[68:69]
	;; [unrolled: 1-line block ×6, first 2 shown]
	v_fma_f64 v[175:176], v[54:55], s[10:11], v[105:106]
	v_fma_f64 v[105:106], v[54:55], s[34:35], v[105:106]
	;; [unrolled: 1-line block ×11, first 2 shown]
	v_fma_f64 v[111:112], v[74:75], s[2:3], -v[143:144]
	v_fma_f64 v[131:132], v[74:75], s[16:17], v[145:146]
	v_fma_f64 v[133:134], v[74:75], s[16:17], -v[145:146]
	v_fma_f64 v[143:144], v[74:75], s[14:15], v[147:148]
	;; [unrolled: 2-line block ×4, first 2 shown]
	v_fma_f64 v[72:73], v[74:75], s[12:13], -v[72:73]
	v_add_f64_e32 v[30:31], v[78:79], v[30:31]
	v_add_f64_e32 v[38:39], v[38:39], v[76:77]
	;; [unrolled: 1-line block ×22, first 2 shown]
	v_fma_f64 v[121:122], v[52:53], s[6:7], v[99:100]
	v_fma_f64 v[99:100], v[52:53], s[30:31], v[99:100]
	;; [unrolled: 1-line block ×11, first 2 shown]
	v_fma_f64 v[18:19], v[70:71], s[0:1], -v[151:152]
	v_fma_f64 v[52:53], v[70:71], s[2:3], v[66:67]
	v_fma_f64 v[66:67], v[70:71], s[2:3], -v[66:67]
	v_fma_f64 v[101:102], v[70:71], s[12:13], v[153:154]
	;; [unrolled: 2-line block ×4, first 2 shown]
	v_fma_f64 v[68:69], v[70:71], s[16:17], -v[68:69]
	v_add_f64_e32 v[30:31], v[54:55], v[30:31]
	v_add_f64_e32 v[28:29], v[131:132], v[28:29]
	;; [unrolled: 1-line block ×44, first 2 shown]
	v_lshrrev_b32_e32 v8, 4, v80
	s_delay_alu instid0(VALU_DEP_1) | instskip(NEXT) | instid1(VALU_DEP_1)
	v_mul_u32_u24_e32 v8, 0xb0, v8
	v_or_b32_e32 v8, v8, v81
	s_delay_alu instid0(VALU_DEP_1)
	v_lshl_add_u32 v8, v8, 4, 0
	ds_store_b128 v8, v[28:31] offset:512
	ds_store_b128 v8, v[24:27] offset:768
	;; [unrolled: 1-line block ×9, first 2 shown]
	ds_store_b128 v8, v[44:47]
	ds_store_b128 v8, v[36:39] offset:2560
.LBB0_37:
	s_or_b32 exec_lo, exec_lo, s33
	v_mul_u32_u24_e32 v0, 6, v80
	global_wb scope:SCOPE_SE
	s_wait_dscnt 0x0
	s_barrier_signal -1
	s_barrier_wait -1
	global_inv scope:SCOPE_SE
	v_lshlrev_b32_e32 v20, 4, v0
	s_mov_b32 s0, 0x37e14327
	s_mov_b32 s1, 0x3fe948f6
	;; [unrolled: 1-line block ×4, first 2 shown]
	s_clause 0x5
	global_load_b128 v[0:3], v20, s[4:5] offset:2784
	global_load_b128 v[4:7], v20, s[4:5] offset:2800
	global_load_b128 v[8:11], v20, s[4:5] offset:2864
	global_load_b128 v[12:15], v20, s[4:5] offset:2848
	global_load_b128 v[16:19], v20, s[4:5] offset:2816
	global_load_b128 v[20:23], v20, s[4:5] offset:2832
	ds_load_b128 v[24:27], v84 offset:2816
	ds_load_b128 v[28:31], v84 offset:5632
	;; [unrolled: 1-line block ×6, first 2 shown]
	s_mov_b32 s4, 0xe976ee23
	s_mov_b32 s5, 0xbfe11646
	;; [unrolled: 1-line block ×6, first 2 shown]
	s_wait_loadcnt_dscnt 0x505
	v_mul_f64_e32 v[48:49], v[26:27], v[2:3]
	v_mul_f64_e32 v[2:3], v[24:25], v[2:3]
	s_wait_loadcnt_dscnt 0x404
	v_mul_f64_e32 v[50:51], v[30:31], v[6:7]
	v_mul_f64_e32 v[6:7], v[28:29], v[6:7]
	;; [unrolled: 3-line block ×6, first 2 shown]
	v_fma_f64 v[24:25], v[24:25], v[0:1], -v[48:49]
	v_fma_f64 v[0:1], v[26:27], v[0:1], v[2:3]
	v_fma_f64 v[2:3], v[28:29], v[4:5], -v[50:51]
	v_fma_f64 v[4:5], v[30:31], v[4:5], v[6:7]
	v_fma_f64 v[6:7], v[32:33], v[8:9], -v[52:53]
	v_fma_f64 v[8:9], v[34:35], v[8:9], v[10:11]
	v_fma_f64 v[10:11], v[36:37], v[12:13], -v[54:55]
	v_fma_f64 v[12:13], v[38:39], v[12:13], v[14:15]
	v_fma_f64 v[14:15], v[40:41], v[16:17], -v[56:57]
	v_fma_f64 v[16:17], v[42:43], v[16:17], v[18:19]
	v_fma_f64 v[18:19], v[44:45], v[20:21], -v[58:59]
	v_fma_f64 v[20:21], v[46:47], v[20:21], v[22:23]
	v_add_f64_e32 v[22:23], v[24:25], v[6:7]
	v_add_f64_e32 v[26:27], v[0:1], v[8:9]
	;; [unrolled: 1-line block ×4, first 2 shown]
	v_add_f64_e64 v[10:11], v[2:3], -v[10:11]
	v_add_f64_e64 v[4:5], v[4:5], -v[12:13]
	v_add_f64_e32 v[32:33], v[14:15], v[18:19]
	v_add_f64_e32 v[34:35], v[16:17], v[20:21]
	v_add_f64_e64 v[12:13], v[18:19], -v[14:15]
	v_add_f64_e64 v[14:15], v[20:21], -v[16:17]
	;; [unrolled: 1-line block ×4, first 2 shown]
	v_add_f64_e32 v[0:1], v[28:29], v[22:23]
	v_add_f64_e32 v[2:3], v[30:31], v[26:27]
	v_add_f64_e64 v[16:17], v[22:23], -v[32:33]
	v_add_f64_e64 v[18:19], v[26:27], -v[34:35]
	;; [unrolled: 1-line block ×10, first 2 shown]
	v_add_f64_e32 v[10:11], v[12:13], v[10:11]
	v_add_f64_e32 v[4:5], v[14:15], v[4:5]
	v_add_f64_e64 v[12:13], v[6:7], -v[12:13]
	v_add_f64_e64 v[14:15], v[8:9], -v[14:15]
	v_add_f64_e32 v[32:33], v[32:33], v[0:1]
	v_add_f64_e32 v[34:35], v[34:35], v[2:3]
	ds_load_b128 v[0:3], v84
	global_wb scope:SCOPE_SE
	s_wait_dscnt 0x0
	s_wait_alu 0xfffe
	v_mul_f64_e32 v[16:17], s[0:1], v[16:17]
	v_mul_f64_e32 v[18:19], s[0:1], v[18:19]
	s_mov_b32 s0, 0x429ad128
	v_mul_f64_e32 v[28:29], s[2:3], v[20:21]
	v_mul_f64_e32 v[30:31], s[2:3], v[24:25]
	;; [unrolled: 1-line block ×4, first 2 shown]
	s_mov_b32 s1, 0x3febfeb5
	s_mov_b32 s4, 0xaaaaaaaa
	s_wait_alu 0xfffe
	v_mul_f64_e32 v[44:45], s[0:1], v[40:41]
	v_mul_f64_e32 v[46:47], s[0:1], v[42:43]
	s_mov_b32 s5, 0xbff2aaaa
	v_add_f64_e32 v[6:7], v[10:11], v[6:7]
	v_add_f64_e32 v[4:5], v[4:5], v[8:9]
	s_barrier_signal -1
	s_barrier_wait -1
	global_inv scope:SCOPE_SE
	v_add_f64_e32 v[0:1], v[0:1], v[32:33]
	v_add_f64_e32 v[2:3], v[2:3], v[34:35]
	v_fma_f64 v[8:9], v[20:21], s[2:3], v[16:17]
	v_fma_f64 v[10:11], v[24:25], s[2:3], v[18:19]
	v_fma_f64 v[20:21], v[22:23], s[6:7], -v[28:29]
	v_fma_f64 v[24:25], v[26:27], s[6:7], -v[30:31]
	s_mov_b32 s7, 0xbfe77f67
	v_fma_f64 v[28:29], v[12:13], s[10:11], v[36:37]
	v_fma_f64 v[30:31], v[14:15], s[10:11], v[38:39]
	s_mov_b32 s11, 0xbfd5d0dc
	v_fma_f64 v[36:37], v[40:41], s[0:1], -v[36:37]
	v_fma_f64 v[38:39], v[42:43], s[0:1], -v[38:39]
	s_wait_alu 0xfffe
	v_fma_f64 v[12:13], v[12:13], s[10:11], -v[44:45]
	v_fma_f64 v[14:15], v[14:15], s[10:11], -v[46:47]
	v_fma_f64 v[16:17], v[22:23], s[6:7], -v[16:17]
	v_fma_f64 v[18:19], v[26:27], s[6:7], -v[18:19]
	s_mov_b32 s0, 0x37c3f68c
	s_mov_b32 s1, 0x3fdc38aa
	v_fma_f64 v[32:33], v[32:33], s[4:5], v[0:1]
	v_fma_f64 v[34:35], v[34:35], s[4:5], v[2:3]
	s_wait_alu 0xfffe
	v_fma_f64 v[26:27], v[6:7], s[0:1], v[28:29]
	v_fma_f64 v[28:29], v[4:5], s[0:1], v[30:31]
	;; [unrolled: 1-line block ×6, first 2 shown]
	v_add_f64_e32 v[40:41], v[8:9], v[32:33]
	v_add_f64_e32 v[42:43], v[10:11], v[34:35]
	;; [unrolled: 1-line block ×7, first 2 shown]
	v_add_f64_e64 v[6:7], v[42:43], -v[26:27]
	v_add_f64_e32 v[8:9], v[38:39], v[44:45]
	v_add_f64_e64 v[10:11], v[46:47], -v[36:37]
	v_add_f64_e64 v[12:13], v[16:17], -v[30:31]
	v_add_f64_e32 v[14:15], v[22:23], v[18:19]
	v_add_f64_e32 v[16:17], v[30:31], v[16:17]
	v_add_f64_e64 v[18:19], v[18:19], -v[22:23]
	v_add_f64_e64 v[20:21], v[44:45], -v[38:39]
	v_add_f64_e32 v[22:23], v[36:37], v[46:47]
	v_add_f64_e64 v[24:25], v[40:41], -v[28:29]
	v_add_f64_e32 v[26:27], v[26:27], v[42:43]
	ds_store_b128 v84, v[0:3]
	ds_store_b128 v84, v[4:7] offset:2816
	ds_store_b128 v84, v[8:11] offset:5632
	;; [unrolled: 1-line block ×6, first 2 shown]
	global_wb scope:SCOPE_SE
	s_wait_dscnt 0x0
	s_barrier_signal -1
	s_barrier_wait -1
	global_inv scope:SCOPE_SE
	s_and_saveexec_b32 s0, vcc_lo
	s_cbranch_execz .LBB0_39
; %bb.38:
	v_lshl_add_u32 v16, v80, 4, 0
	v_dual_mov_b32 v81, 0 :: v_dual_add_nc_u32 v8, 0xb0, v80
	v_add_co_u32 v30, vcc_lo, s8, v82
	ds_load_b128 v[0:3], v16
	ds_load_b128 v[4:7], v16 offset:2816
	v_dual_mov_b32 v9, v81 :: v_dual_add_nc_u32 v12, 0x160, v80
	v_lshlrev_b64_e32 v[10:11], 4, v[80:81]
	s_wait_alu 0xfffd
	v_add_co_ci_u32_e32 v31, vcc_lo, s9, v83, vcc_lo
	s_delay_alu instid0(VALU_DEP_3) | instskip(SKIP_1) | instid1(VALU_DEP_4)
	v_lshlrev_b64_e32 v[8:9], 4, v[8:9]
	v_dual_mov_b32 v13, v81 :: v_dual_add_nc_u32 v14, 0x210, v80
	v_add_co_u32 v10, vcc_lo, v30, v10
	s_wait_alu 0xfffd
	v_add_co_ci_u32_e32 v11, vcc_lo, v31, v11, vcc_lo
	s_delay_alu instid0(VALU_DEP_4)
	v_add_co_u32 v8, vcc_lo, v30, v8
	v_mov_b32_e32 v15, v81
	s_wait_alu 0xfffd
	v_add_co_ci_u32_e32 v9, vcc_lo, v31, v9, vcc_lo
	v_lshlrev_b64_e32 v[12:13], 4, v[12:13]
	v_mov_b32_e32 v25, v81
	s_wait_dscnt 0x1
	global_store_b128 v[10:11], v[0:3], off
	s_wait_dscnt 0x0
	global_store_b128 v[8:9], v[4:7], off
	v_add_nc_u32_e32 v10, 0x2c0, v80
	v_lshlrev_b64_e32 v[8:9], 4, v[14:15]
	v_dual_mov_b32 v11, v81 :: v_dual_add_nc_u32 v24, 0x370, v80
	v_add_co_u32 v20, vcc_lo, v30, v12
	s_wait_alu 0xfffd
	v_add_co_ci_u32_e32 v21, vcc_lo, v31, v13, vcc_lo
	s_delay_alu instid0(VALU_DEP_4)
	v_add_co_u32 v22, vcc_lo, v30, v8
	ds_load_b128 v[0:3], v16 offset:5632
	ds_load_b128 v[4:7], v16 offset:8448
	s_wait_alu 0xfffd
	v_add_co_ci_u32_e32 v23, vcc_lo, v31, v9, vcc_lo
	v_lshlrev_b64_e32 v[26:27], 4, v[10:11]
	ds_load_b128 v[8:11], v16 offset:11264
	ds_load_b128 v[12:15], v16 offset:14080
	;; [unrolled: 1-line block ×3, first 2 shown]
	v_add_nc_u32_e32 v80, 0x420, v80
	v_lshlrev_b64_e32 v[24:25], 4, v[24:25]
	v_add_co_u32 v26, vcc_lo, v30, v26
	s_delay_alu instid0(VALU_DEP_3) | instskip(SKIP_2) | instid1(VALU_DEP_4)
	v_lshlrev_b64_e32 v[28:29], 4, v[80:81]
	s_wait_alu 0xfffd
	v_add_co_ci_u32_e32 v27, vcc_lo, v31, v27, vcc_lo
	v_add_co_u32 v24, vcc_lo, v30, v24
	s_wait_alu 0xfffd
	v_add_co_ci_u32_e32 v25, vcc_lo, v31, v25, vcc_lo
	v_add_co_u32 v28, vcc_lo, v30, v28
	s_wait_alu 0xfffd
	v_add_co_ci_u32_e32 v29, vcc_lo, v31, v29, vcc_lo
	s_wait_dscnt 0x4
	global_store_b128 v[20:21], v[0:3], off
	s_wait_dscnt 0x3
	global_store_b128 v[22:23], v[4:7], off
	;; [unrolled: 2-line block ×5, first 2 shown]
.LBB0_39:
	s_nop 0
	s_sendmsg sendmsg(MSG_DEALLOC_VGPRS)
	s_endpgm
	.section	.rodata,"a",@progbits
	.p2align	6, 0x0
	.amdhsa_kernel fft_rtc_fwd_len1232_factors_2_2_2_2_11_7_wgs_176_tpt_176_halfLds_dp_ip_CI_unitstride_sbrr_C2R_dirReg
		.amdhsa_group_segment_fixed_size 0
		.amdhsa_private_segment_fixed_size 0
		.amdhsa_kernarg_size 88
		.amdhsa_user_sgpr_count 2
		.amdhsa_user_sgpr_dispatch_ptr 0
		.amdhsa_user_sgpr_queue_ptr 0
		.amdhsa_user_sgpr_kernarg_segment_ptr 1
		.amdhsa_user_sgpr_dispatch_id 0
		.amdhsa_user_sgpr_private_segment_size 0
		.amdhsa_wavefront_size32 1
		.amdhsa_uses_dynamic_stack 0
		.amdhsa_enable_private_segment 0
		.amdhsa_system_sgpr_workgroup_id_x 1
		.amdhsa_system_sgpr_workgroup_id_y 0
		.amdhsa_system_sgpr_workgroup_id_z 0
		.amdhsa_system_sgpr_workgroup_info 0
		.amdhsa_system_vgpr_workitem_id 0
		.amdhsa_next_free_vgpr 189
		.amdhsa_next_free_sgpr 36
		.amdhsa_reserve_vcc 1
		.amdhsa_float_round_mode_32 0
		.amdhsa_float_round_mode_16_64 0
		.amdhsa_float_denorm_mode_32 3
		.amdhsa_float_denorm_mode_16_64 3
		.amdhsa_fp16_overflow 0
		.amdhsa_workgroup_processor_mode 1
		.amdhsa_memory_ordered 1
		.amdhsa_forward_progress 0
		.amdhsa_round_robin_scheduling 0
		.amdhsa_exception_fp_ieee_invalid_op 0
		.amdhsa_exception_fp_denorm_src 0
		.amdhsa_exception_fp_ieee_div_zero 0
		.amdhsa_exception_fp_ieee_overflow 0
		.amdhsa_exception_fp_ieee_underflow 0
		.amdhsa_exception_fp_ieee_inexact 0
		.amdhsa_exception_int_div_zero 0
	.end_amdhsa_kernel
	.text
.Lfunc_end0:
	.size	fft_rtc_fwd_len1232_factors_2_2_2_2_11_7_wgs_176_tpt_176_halfLds_dp_ip_CI_unitstride_sbrr_C2R_dirReg, .Lfunc_end0-fft_rtc_fwd_len1232_factors_2_2_2_2_11_7_wgs_176_tpt_176_halfLds_dp_ip_CI_unitstride_sbrr_C2R_dirReg
                                        ; -- End function
	.section	.AMDGPU.csdata,"",@progbits
; Kernel info:
; codeLenInByte = 8744
; NumSgprs: 38
; NumVgprs: 189
; ScratchSize: 0
; MemoryBound: 0
; FloatMode: 240
; IeeeMode: 1
; LDSByteSize: 0 bytes/workgroup (compile time only)
; SGPRBlocks: 4
; VGPRBlocks: 23
; NumSGPRsForWavesPerEU: 38
; NumVGPRsForWavesPerEU: 189
; Occupancy: 8
; WaveLimiterHint : 1
; COMPUTE_PGM_RSRC2:SCRATCH_EN: 0
; COMPUTE_PGM_RSRC2:USER_SGPR: 2
; COMPUTE_PGM_RSRC2:TRAP_HANDLER: 0
; COMPUTE_PGM_RSRC2:TGID_X_EN: 1
; COMPUTE_PGM_RSRC2:TGID_Y_EN: 0
; COMPUTE_PGM_RSRC2:TGID_Z_EN: 0
; COMPUTE_PGM_RSRC2:TIDIG_COMP_CNT: 0
	.text
	.p2alignl 7, 3214868480
	.fill 96, 4, 3214868480
	.type	__hip_cuid_d562e46913355856,@object ; @__hip_cuid_d562e46913355856
	.section	.bss,"aw",@nobits
	.globl	__hip_cuid_d562e46913355856
__hip_cuid_d562e46913355856:
	.byte	0                               ; 0x0
	.size	__hip_cuid_d562e46913355856, 1

	.ident	"AMD clang version 19.0.0git (https://github.com/RadeonOpenCompute/llvm-project roc-6.4.0 25133 c7fe45cf4b819c5991fe208aaa96edf142730f1d)"
	.section	".note.GNU-stack","",@progbits
	.addrsig
	.addrsig_sym __hip_cuid_d562e46913355856
	.amdgpu_metadata
---
amdhsa.kernels:
  - .args:
      - .actual_access:  read_only
        .address_space:  global
        .offset:         0
        .size:           8
        .value_kind:     global_buffer
      - .offset:         8
        .size:           8
        .value_kind:     by_value
      - .actual_access:  read_only
        .address_space:  global
        .offset:         16
        .size:           8
        .value_kind:     global_buffer
      - .actual_access:  read_only
        .address_space:  global
        .offset:         24
        .size:           8
        .value_kind:     global_buffer
      - .offset:         32
        .size:           8
        .value_kind:     by_value
      - .actual_access:  read_only
        .address_space:  global
        .offset:         40
        .size:           8
        .value_kind:     global_buffer
      - .actual_access:  read_only
        .address_space:  global
        .offset:         48
        .size:           8
        .value_kind:     global_buffer
      - .offset:         56
        .size:           4
        .value_kind:     by_value
      - .actual_access:  read_only
        .address_space:  global
        .offset:         64
        .size:           8
        .value_kind:     global_buffer
      - .actual_access:  read_only
        .address_space:  global
        .offset:         72
        .size:           8
        .value_kind:     global_buffer
      - .address_space:  global
        .offset:         80
        .size:           8
        .value_kind:     global_buffer
    .group_segment_fixed_size: 0
    .kernarg_segment_align: 8
    .kernarg_segment_size: 88
    .language:       OpenCL C
    .language_version:
      - 2
      - 0
    .max_flat_workgroup_size: 176
    .name:           fft_rtc_fwd_len1232_factors_2_2_2_2_11_7_wgs_176_tpt_176_halfLds_dp_ip_CI_unitstride_sbrr_C2R_dirReg
    .private_segment_fixed_size: 0
    .sgpr_count:     38
    .sgpr_spill_count: 0
    .symbol:         fft_rtc_fwd_len1232_factors_2_2_2_2_11_7_wgs_176_tpt_176_halfLds_dp_ip_CI_unitstride_sbrr_C2R_dirReg.kd
    .uniform_work_group_size: 1
    .uses_dynamic_stack: false
    .vgpr_count:     189
    .vgpr_spill_count: 0
    .wavefront_size: 32
    .workgroup_processor_mode: 1
amdhsa.target:   amdgcn-amd-amdhsa--gfx1201
amdhsa.version:
  - 1
  - 2
...

	.end_amdgpu_metadata
